;; amdgpu-corpus repo=ROCm/rocFFT kind=compiled arch=gfx1201 opt=O3
	.text
	.amdgcn_target "amdgcn-amd-amdhsa--gfx1201"
	.amdhsa_code_object_version 6
	.protected	fft_rtc_back_len1100_factors_2_2_11_5_5_wgs_110_tpt_110_sp_ip_CI_sbrr_dirReg ; -- Begin function fft_rtc_back_len1100_factors_2_2_11_5_5_wgs_110_tpt_110_sp_ip_CI_sbrr_dirReg
	.globl	fft_rtc_back_len1100_factors_2_2_11_5_5_wgs_110_tpt_110_sp_ip_CI_sbrr_dirReg
	.p2align	8
	.type	fft_rtc_back_len1100_factors_2_2_11_5_5_wgs_110_tpt_110_sp_ip_CI_sbrr_dirReg,@function
fft_rtc_back_len1100_factors_2_2_11_5_5_wgs_110_tpt_110_sp_ip_CI_sbrr_dirReg: ; @fft_rtc_back_len1100_factors_2_2_11_5_5_wgs_110_tpt_110_sp_ip_CI_sbrr_dirReg
; %bb.0:
	s_clause 0x2
	s_load_b64 s[12:13], s[0:1], 0x18
	s_load_b128 s[4:7], s[0:1], 0x0
	s_load_b64 s[10:11], s[0:1], 0x50
	v_mul_u32_u24_e32 v1, 0x254, v0
	v_mov_b32_e32 v3, 0
	s_delay_alu instid0(VALU_DEP_2) | instskip(NEXT) | instid1(VALU_DEP_1)
	v_lshrrev_b32_e32 v1, 16, v1
	v_add_nc_u32_e32 v5, ttmp9, v1
	v_mov_b32_e32 v1, 0
	v_mov_b32_e32 v2, 0
	;; [unrolled: 1-line block ×3, first 2 shown]
	s_wait_kmcnt 0x0
	s_load_b64 s[8:9], s[12:13], 0x0
	v_cmp_lt_u64_e64 s2, s[6:7], 2
	s_delay_alu instid0(VALU_DEP_1)
	s_and_b32 vcc_lo, exec_lo, s2
	s_cbranch_vccnz .LBB0_8
; %bb.1:
	s_load_b64 s[2:3], s[0:1], 0x10
	v_mov_b32_e32 v1, 0
	v_mov_b32_e32 v2, 0
	s_add_nc_u64 s[14:15], s[12:13], 8
	s_mov_b64 s[16:17], 1
	s_wait_kmcnt 0x0
	s_add_nc_u64 s[18:19], s[2:3], 8
	s_mov_b32 s3, 0
.LBB0_2:                                ; =>This Inner Loop Header: Depth=1
	s_load_b64 s[20:21], s[18:19], 0x0
                                        ; implicit-def: $vgpr7_vgpr8
	s_mov_b32 s2, exec_lo
	s_wait_kmcnt 0x0
	v_or_b32_e32 v4, s21, v6
	s_delay_alu instid0(VALU_DEP_1)
	v_cmpx_ne_u64_e32 0, v[3:4]
	s_wait_alu 0xfffe
	s_xor_b32 s22, exec_lo, s2
	s_cbranch_execz .LBB0_4
; %bb.3:                                ;   in Loop: Header=BB0_2 Depth=1
	s_cvt_f32_u32 s2, s20
	s_cvt_f32_u32 s23, s21
	s_sub_nc_u64 s[26:27], 0, s[20:21]
	s_wait_alu 0xfffe
	s_delay_alu instid0(SALU_CYCLE_1) | instskip(SKIP_1) | instid1(SALU_CYCLE_2)
	s_fmamk_f32 s2, s23, 0x4f800000, s2
	s_wait_alu 0xfffe
	v_s_rcp_f32 s2, s2
	s_delay_alu instid0(TRANS32_DEP_1) | instskip(SKIP_1) | instid1(SALU_CYCLE_2)
	s_mul_f32 s2, s2, 0x5f7ffffc
	s_wait_alu 0xfffe
	s_mul_f32 s23, s2, 0x2f800000
	s_wait_alu 0xfffe
	s_delay_alu instid0(SALU_CYCLE_2) | instskip(SKIP_1) | instid1(SALU_CYCLE_2)
	s_trunc_f32 s23, s23
	s_wait_alu 0xfffe
	s_fmamk_f32 s2, s23, 0xcf800000, s2
	s_cvt_u32_f32 s25, s23
	s_wait_alu 0xfffe
	s_delay_alu instid0(SALU_CYCLE_1) | instskip(SKIP_1) | instid1(SALU_CYCLE_2)
	s_cvt_u32_f32 s24, s2
	s_wait_alu 0xfffe
	s_mul_u64 s[28:29], s[26:27], s[24:25]
	s_wait_alu 0xfffe
	s_mul_hi_u32 s31, s24, s29
	s_mul_i32 s30, s24, s29
	s_mul_hi_u32 s2, s24, s28
	s_mul_i32 s33, s25, s28
	s_wait_alu 0xfffe
	s_add_nc_u64 s[30:31], s[2:3], s[30:31]
	s_mul_hi_u32 s23, s25, s28
	s_mul_hi_u32 s34, s25, s29
	s_add_co_u32 s2, s30, s33
	s_wait_alu 0xfffe
	s_add_co_ci_u32 s2, s31, s23
	s_mul_i32 s28, s25, s29
	s_add_co_ci_u32 s29, s34, 0
	s_wait_alu 0xfffe
	s_add_nc_u64 s[28:29], s[2:3], s[28:29]
	s_wait_alu 0xfffe
	v_add_co_u32 v4, s2, s24, s28
	s_delay_alu instid0(VALU_DEP_1) | instskip(SKIP_1) | instid1(VALU_DEP_1)
	s_cmp_lg_u32 s2, 0
	s_add_co_ci_u32 s25, s25, s29
	v_readfirstlane_b32 s24, v4
	s_wait_alu 0xfffe
	s_delay_alu instid0(VALU_DEP_1)
	s_mul_u64 s[26:27], s[26:27], s[24:25]
	s_wait_alu 0xfffe
	s_mul_hi_u32 s29, s24, s27
	s_mul_i32 s28, s24, s27
	s_mul_hi_u32 s2, s24, s26
	s_mul_i32 s30, s25, s26
	s_wait_alu 0xfffe
	s_add_nc_u64 s[28:29], s[2:3], s[28:29]
	s_mul_hi_u32 s23, s25, s26
	s_mul_hi_u32 s24, s25, s27
	s_wait_alu 0xfffe
	s_add_co_u32 s2, s28, s30
	s_add_co_ci_u32 s2, s29, s23
	s_mul_i32 s26, s25, s27
	s_add_co_ci_u32 s27, s24, 0
	s_wait_alu 0xfffe
	s_add_nc_u64 s[26:27], s[2:3], s[26:27]
	s_wait_alu 0xfffe
	v_add_co_u32 v4, s2, v4, s26
	s_delay_alu instid0(VALU_DEP_1) | instskip(SKIP_1) | instid1(VALU_DEP_1)
	s_cmp_lg_u32 s2, 0
	s_add_co_ci_u32 s2, s25, s27
	v_mul_hi_u32 v13, v5, v4
	s_wait_alu 0xfffe
	v_mad_co_u64_u32 v[7:8], null, v5, s2, 0
	v_mad_co_u64_u32 v[9:10], null, v6, v4, 0
	;; [unrolled: 1-line block ×3, first 2 shown]
	s_delay_alu instid0(VALU_DEP_3) | instskip(SKIP_1) | instid1(VALU_DEP_4)
	v_add_co_u32 v4, vcc_lo, v13, v7
	s_wait_alu 0xfffd
	v_add_co_ci_u32_e32 v7, vcc_lo, 0, v8, vcc_lo
	s_delay_alu instid0(VALU_DEP_2) | instskip(SKIP_1) | instid1(VALU_DEP_2)
	v_add_co_u32 v4, vcc_lo, v4, v9
	s_wait_alu 0xfffd
	v_add_co_ci_u32_e32 v4, vcc_lo, v7, v10, vcc_lo
	s_wait_alu 0xfffd
	v_add_co_ci_u32_e32 v7, vcc_lo, 0, v12, vcc_lo
	s_delay_alu instid0(VALU_DEP_2) | instskip(SKIP_1) | instid1(VALU_DEP_2)
	v_add_co_u32 v4, vcc_lo, v4, v11
	s_wait_alu 0xfffd
	v_add_co_ci_u32_e32 v9, vcc_lo, 0, v7, vcc_lo
	s_delay_alu instid0(VALU_DEP_2) | instskip(SKIP_1) | instid1(VALU_DEP_3)
	v_mul_lo_u32 v10, s21, v4
	v_mad_co_u64_u32 v[7:8], null, s20, v4, 0
	v_mul_lo_u32 v11, s20, v9
	s_delay_alu instid0(VALU_DEP_2) | instskip(NEXT) | instid1(VALU_DEP_2)
	v_sub_co_u32 v7, vcc_lo, v5, v7
	v_add3_u32 v8, v8, v11, v10
	s_delay_alu instid0(VALU_DEP_1) | instskip(SKIP_1) | instid1(VALU_DEP_1)
	v_sub_nc_u32_e32 v10, v6, v8
	s_wait_alu 0xfffd
	v_subrev_co_ci_u32_e64 v10, s2, s21, v10, vcc_lo
	v_add_co_u32 v11, s2, v4, 2
	s_wait_alu 0xf1ff
	v_add_co_ci_u32_e64 v12, s2, 0, v9, s2
	v_sub_co_u32 v13, s2, v7, s20
	v_sub_co_ci_u32_e32 v8, vcc_lo, v6, v8, vcc_lo
	s_wait_alu 0xf1ff
	v_subrev_co_ci_u32_e64 v10, s2, 0, v10, s2
	s_delay_alu instid0(VALU_DEP_3) | instskip(NEXT) | instid1(VALU_DEP_3)
	v_cmp_le_u32_e32 vcc_lo, s20, v13
	v_cmp_eq_u32_e64 s2, s21, v8
	s_wait_alu 0xfffd
	v_cndmask_b32_e64 v13, 0, -1, vcc_lo
	v_cmp_le_u32_e32 vcc_lo, s21, v10
	s_wait_alu 0xfffd
	v_cndmask_b32_e64 v14, 0, -1, vcc_lo
	v_cmp_le_u32_e32 vcc_lo, s20, v7
	;; [unrolled: 3-line block ×3, first 2 shown]
	s_wait_alu 0xfffd
	v_cndmask_b32_e64 v15, 0, -1, vcc_lo
	v_cmp_eq_u32_e32 vcc_lo, s21, v10
	s_wait_alu 0xf1ff
	s_delay_alu instid0(VALU_DEP_2)
	v_cndmask_b32_e64 v7, v15, v7, s2
	s_wait_alu 0xfffd
	v_cndmask_b32_e32 v10, v14, v13, vcc_lo
	v_add_co_u32 v13, vcc_lo, v4, 1
	s_wait_alu 0xfffd
	v_add_co_ci_u32_e32 v14, vcc_lo, 0, v9, vcc_lo
	s_delay_alu instid0(VALU_DEP_3) | instskip(SKIP_2) | instid1(VALU_DEP_3)
	v_cmp_ne_u32_e32 vcc_lo, 0, v10
	s_wait_alu 0xfffd
	v_cndmask_b32_e32 v10, v13, v11, vcc_lo
	v_cndmask_b32_e32 v8, v14, v12, vcc_lo
	v_cmp_ne_u32_e32 vcc_lo, 0, v7
	s_wait_alu 0xfffd
	s_delay_alu instid0(VALU_DEP_2)
	v_dual_cndmask_b32 v7, v4, v10 :: v_dual_cndmask_b32 v8, v9, v8
.LBB0_4:                                ;   in Loop: Header=BB0_2 Depth=1
	s_wait_alu 0xfffe
	s_and_not1_saveexec_b32 s2, s22
	s_cbranch_execz .LBB0_6
; %bb.5:                                ;   in Loop: Header=BB0_2 Depth=1
	v_cvt_f32_u32_e32 v4, s20
	s_sub_co_i32 s22, 0, s20
	s_delay_alu instid0(VALU_DEP_1) | instskip(NEXT) | instid1(TRANS32_DEP_1)
	v_rcp_iflag_f32_e32 v4, v4
	v_mul_f32_e32 v4, 0x4f7ffffe, v4
	s_delay_alu instid0(VALU_DEP_1) | instskip(SKIP_1) | instid1(VALU_DEP_1)
	v_cvt_u32_f32_e32 v4, v4
	s_wait_alu 0xfffe
	v_mul_lo_u32 v7, s22, v4
	s_delay_alu instid0(VALU_DEP_1) | instskip(NEXT) | instid1(VALU_DEP_1)
	v_mul_hi_u32 v7, v4, v7
	v_add_nc_u32_e32 v4, v4, v7
	s_delay_alu instid0(VALU_DEP_1) | instskip(NEXT) | instid1(VALU_DEP_1)
	v_mul_hi_u32 v4, v5, v4
	v_mul_lo_u32 v7, v4, s20
	v_add_nc_u32_e32 v8, 1, v4
	s_delay_alu instid0(VALU_DEP_2) | instskip(NEXT) | instid1(VALU_DEP_1)
	v_sub_nc_u32_e32 v7, v5, v7
	v_subrev_nc_u32_e32 v9, s20, v7
	v_cmp_le_u32_e32 vcc_lo, s20, v7
	s_wait_alu 0xfffd
	s_delay_alu instid0(VALU_DEP_2) | instskip(NEXT) | instid1(VALU_DEP_1)
	v_dual_cndmask_b32 v7, v7, v9 :: v_dual_cndmask_b32 v4, v4, v8
	v_cmp_le_u32_e32 vcc_lo, s20, v7
	s_delay_alu instid0(VALU_DEP_2) | instskip(SKIP_1) | instid1(VALU_DEP_1)
	v_add_nc_u32_e32 v8, 1, v4
	s_wait_alu 0xfffd
	v_dual_cndmask_b32 v7, v4, v8 :: v_dual_mov_b32 v8, v3
.LBB0_6:                                ;   in Loop: Header=BB0_2 Depth=1
	s_wait_alu 0xfffe
	s_or_b32 exec_lo, exec_lo, s2
	s_load_b64 s[22:23], s[14:15], 0x0
	s_delay_alu instid0(VALU_DEP_1)
	v_mul_lo_u32 v4, v8, s20
	v_mul_lo_u32 v11, v7, s21
	v_mad_co_u64_u32 v[9:10], null, v7, s20, 0
	s_add_nc_u64 s[16:17], s[16:17], 1
	s_add_nc_u64 s[14:15], s[14:15], 8
	s_wait_alu 0xfffe
	v_cmp_ge_u64_e64 s2, s[16:17], s[6:7]
	s_add_nc_u64 s[18:19], s[18:19], 8
	s_delay_alu instid0(VALU_DEP_2) | instskip(NEXT) | instid1(VALU_DEP_3)
	v_add3_u32 v4, v10, v11, v4
	v_sub_co_u32 v5, vcc_lo, v5, v9
	s_wait_alu 0xfffd
	s_delay_alu instid0(VALU_DEP_2) | instskip(SKIP_3) | instid1(VALU_DEP_2)
	v_sub_co_ci_u32_e32 v4, vcc_lo, v6, v4, vcc_lo
	s_and_b32 vcc_lo, exec_lo, s2
	s_wait_kmcnt 0x0
	v_mul_lo_u32 v6, s23, v5
	v_mul_lo_u32 v4, s22, v4
	v_mad_co_u64_u32 v[1:2], null, s22, v5, v[1:2]
	s_delay_alu instid0(VALU_DEP_1)
	v_add3_u32 v2, v6, v2, v4
	s_wait_alu 0xfffe
	s_cbranch_vccnz .LBB0_9
; %bb.7:                                ;   in Loop: Header=BB0_2 Depth=1
	v_dual_mov_b32 v5, v7 :: v_dual_mov_b32 v6, v8
	s_branch .LBB0_2
.LBB0_8:
	v_dual_mov_b32 v8, v6 :: v_dual_mov_b32 v7, v5
.LBB0_9:
	s_lshl_b64 s[2:3], s[6:7], 3
	v_mul_hi_u32 v3, 0x253c826, v0
	s_wait_alu 0xfffe
	s_add_nc_u64 s[2:3], s[12:13], s[2:3]
	s_load_b64 s[0:1], s[0:1], 0x20
	s_load_b64 s[2:3], s[2:3], 0x0
                                        ; implicit-def: $vgpr50
                                        ; implicit-def: $vgpr22
                                        ; implicit-def: $vgpr23
	s_delay_alu instid0(VALU_DEP_1) | instskip(NEXT) | instid1(VALU_DEP_1)
	v_mul_u32_u24_e32 v3, 0x6e, v3
	v_sub_nc_u32_e32 v45, v0, v3
	s_delay_alu instid0(VALU_DEP_1)
	v_add_nc_u32_e32 v44, 0x6e, v45
	v_add_nc_u32_e32 v46, 0xdc, v45
	;; [unrolled: 1-line block ×4, first 2 shown]
	s_wait_kmcnt 0x0
	v_cmp_gt_u64_e32 vcc_lo, s[0:1], v[7:8]
	v_mul_lo_u32 v0, s2, v8
	v_mul_lo_u32 v4, s3, v7
	v_mad_co_u64_u32 v[2:3], null, s2, v7, v[1:2]
	v_cmp_le_u64_e64 s0, s[0:1], v[7:8]
                                        ; implicit-def: $sgpr2_sgpr3
	s_delay_alu instid0(VALU_DEP_2) | instskip(NEXT) | instid1(VALU_DEP_2)
	v_add3_u32 v3, v4, v3, v0
	s_and_saveexec_b32 s1, s0
	s_wait_alu 0xfffe
	s_xor_b32 s0, exec_lo, s1
; %bb.10:
	v_add_nc_u32_e32 v50, 0x6e, v45
	v_add_nc_u32_e32 v22, 0xdc, v45
	;; [unrolled: 1-line block ×4, first 2 shown]
	s_mov_b64 s[2:3], 0
; %bb.11:
	s_wait_alu 0xfffe
	s_or_saveexec_b32 s1, s0
	v_lshlrev_b64_e32 v[40:41], 3, v[2:3]
	v_dual_mov_b32 v2, s2 :: v_dual_add_nc_u32 v49, 0x370, v45
	v_dual_mov_b32 v0, s2 :: v_dual_mov_b32 v1, s3
	v_dual_mov_b32 v3, s3 :: v_dual_add_nc_u32 v48, 0x294, v45
	v_dual_mov_b32 v13, s3 :: v_dual_mov_b32 v12, s2
	v_dual_mov_b32 v9, s3 :: v_dual_mov_b32 v8, s2
	;; [unrolled: 1-line block ×3, first 2 shown]
                                        ; implicit-def: $vgpr7
                                        ; implicit-def: $vgpr5
                                        ; implicit-def: $vgpr19
                                        ; implicit-def: $vgpr15
                                        ; implicit-def: $vgpr17
	s_wait_alu 0xfffe
	s_xor_b32 exec_lo, exec_lo, s1
	s_cbranch_execz .LBB0_13
; %bb.12:
	v_add_nc_u32_e32 v10, 0x226, v45
	v_mad_co_u64_u32 v[0:1], null, s8, v45, 0
	v_mad_co_u64_u32 v[4:5], null, s8, v44, 0
	s_delay_alu instid0(VALU_DEP_3)
	v_mad_co_u64_u32 v[2:3], null, s8, v10, 0
	v_mad_co_u64_u32 v[6:7], null, s8, v48, 0
	v_add_nc_u32_e32 v17, 0x302, v45
	v_add_co_u32 v26, s0, s10, v40
	s_wait_alu 0xf1ff
	v_add_co_ci_u32_e64 v27, s0, s11, v41, s0
	v_mad_co_u64_u32 v[8:9], null, s9, v45, v[1:2]
	v_add_nc_u32_e32 v24, 0x3de, v45
	s_delay_alu instid0(VALU_DEP_2)
	v_dual_mov_b32 v50, v44 :: v_dual_mov_b32 v1, v8
	v_mad_co_u64_u32 v[9:10], null, s9, v10, v[3:4]
	v_mad_co_u64_u32 v[10:11], null, s9, v44, v[5:6]
	;; [unrolled: 1-line block ×3, first 2 shown]
	v_mov_b32_e32 v5, v7
	v_lshlrev_b64_e32 v[0:1], 3, v[0:1]
	v_mov_b32_e32 v3, v9
	s_delay_alu instid0(VALU_DEP_3)
	v_mad_co_u64_u32 v[7:8], null, s9, v48, v[5:6]
	v_mov_b32_e32 v5, v10
	v_mad_co_u64_u32 v[9:10], null, s8, v17, 0
	v_mov_b32_e32 v8, v12
	v_add_co_u32 v0, s0, v26, v0
	s_wait_alu 0xf1ff
	v_add_co_ci_u32_e64 v1, s0, v27, v1, s0
	v_lshlrev_b64_e32 v[6:7], 3, v[6:7]
	v_mad_co_u64_u32 v[12:13], null, s9, v46, v[8:9]
	v_mad_co_u64_u32 v[13:14], null, s8, v20, 0
	v_mov_b32_e32 v8, v10
	v_lshlrev_b64_e32 v[2:3], 3, v[2:3]
	s_delay_alu instid0(VALU_DEP_4) | instskip(NEXT) | instid1(VALU_DEP_3)
	v_lshlrev_b64_e32 v[11:12], 3, v[11:12]
	v_mad_co_u64_u32 v[17:18], null, s9, v17, v[8:9]
	v_mov_b32_e32 v8, v14
	v_lshlrev_b64_e32 v[4:5], 3, v[4:5]
	v_add_co_u32 v2, s0, v26, v2
	s_wait_alu 0xf1ff
	v_add_co_ci_u32_e64 v3, s0, v27, v3, s0
	v_mad_co_u64_u32 v[18:19], null, s8, v49, 0
	s_delay_alu instid0(VALU_DEP_4)
	v_add_co_u32 v4, s0, v26, v4
	s_wait_alu 0xf1ff
	v_add_co_ci_u32_e64 v5, s0, v27, v5, s0
	v_add_co_u32 v15, s0, v26, v6
	s_wait_alu 0xf1ff
	v_add_co_ci_u32_e64 v16, s0, v27, v7, s0
	s_clause 0x3
	global_load_b64 v[0:1], v[0:1], off
	global_load_b64 v[6:7], v[2:3], off
	;; [unrolled: 1-line block ×4, first 2 shown]
	v_mad_co_u64_u32 v[14:15], null, s9, v20, v[8:9]
	v_mov_b32_e32 v8, v19
	v_mad_co_u64_u32 v[15:16], null, s8, v47, 0
	v_add_co_u32 v11, s0, v26, v11
	s_delay_alu instid0(VALU_DEP_3)
	v_mad_co_u64_u32 v[21:22], null, s9, v49, v[8:9]
	v_mov_b32_e32 v10, v17
	v_mad_co_u64_u32 v[22:23], null, s8, v24, 0
	v_mov_b32_e32 v8, v16
	s_wait_alu 0xf1ff
	v_add_co_ci_u32_e64 v12, s0, v27, v12, s0
	v_mov_b32_e32 v19, v21
	v_lshlrev_b64_e32 v[9:10], 3, v[9:10]
	v_lshlrev_b64_e32 v[13:14], 3, v[13:14]
	s_delay_alu instid0(VALU_DEP_2)
	v_mad_co_u64_u32 v[16:17], null, s9, v47, v[8:9]
	v_mov_b32_e32 v8, v23
	v_add_co_u32 v9, s0, v26, v9
	v_lshlrev_b64_e32 v[17:18], 3, v[18:19]
	s_wait_alu 0xf1ff
	v_add_co_ci_u32_e64 v10, s0, v27, v10, s0
	s_delay_alu instid0(VALU_DEP_3)
	v_mad_co_u64_u32 v[23:24], null, s9, v24, v[8:9]
	v_add_co_u32 v24, s0, v26, v13
	s_wait_alu 0xf1ff
	v_add_co_ci_u32_e64 v25, s0, v27, v14, s0
	v_lshlrev_b64_e32 v[13:14], 3, v[15:16]
	v_add_co_u32 v15, s0, v26, v17
	s_wait_alu 0xf1ff
	v_add_co_ci_u32_e64 v16, s0, v27, v18, s0
	v_lshlrev_b64_e32 v[17:18], 3, v[22:23]
	s_delay_alu instid0(VALU_DEP_4) | instskip(SKIP_3) | instid1(VALU_DEP_4)
	v_add_co_u32 v21, s0, v26, v13
	s_wait_alu 0xf1ff
	v_add_co_ci_u32_e64 v22, s0, v27, v14, s0
	v_mov_b32_e32 v23, v47
	v_add_co_u32 v26, s0, v26, v17
	s_wait_alu 0xf1ff
	v_add_co_ci_u32_e64 v27, s0, v27, v18, s0
	s_clause 0x5
	global_load_b64 v[12:13], v[11:12], off
	global_load_b64 v[18:19], v[9:10], off
	;; [unrolled: 1-line block ×6, first 2 shown]
	v_mov_b32_e32 v22, v46
.LBB0_13:
	s_or_b32 exec_lo, exec_lo, s1
	s_wait_loadcnt 0x8
	v_dual_sub_f32 v6, v0, v6 :: v_dual_sub_f32 v7, v1, v7
	v_lshl_add_u32 v29, v45, 4, 0
	s_wait_loadcnt 0x6
	v_dual_sub_f32 v4, v2, v4 :: v_dual_sub_f32 v5, v3, v5
	s_delay_alu instid0(VALU_DEP_3)
	v_fma_f32 v0, v0, 2.0, -v6
	v_fma_f32 v1, v1, 2.0, -v7
	s_wait_loadcnt 0x4
	v_dual_sub_f32 v18, v12, v18 :: v_dual_sub_f32 v19, v13, v19
	s_wait_loadcnt 0x2
	v_dual_sub_f32 v16, v8, v16 :: v_dual_sub_f32 v17, v9, v17
	ds_store_2addr_b64 v29, v[0:1], v[6:7] offset1:1
	v_and_b32_e32 v6, 1, v45
	s_wait_loadcnt 0x0
	v_dual_sub_f32 v14, v10, v14 :: v_dual_sub_f32 v15, v11, v15
	v_fma_f32 v2, v2, 2.0, -v4
	v_fma_f32 v3, v3, 2.0, -v5
	v_lshl_add_u32 v52, v50, 4, 0
	v_lshlrev_b32_e32 v1, 3, v6
	v_fma_f32 v12, v12, 2.0, -v18
	v_fma_f32 v13, v13, 2.0, -v19
	v_lshl_add_u32 v53, v22, 4, 0
	v_fma_f32 v8, v8, 2.0, -v16
	v_fma_f32 v9, v9, 2.0, -v17
	v_lshl_add_u32 v0, v20, 4, 0
	;; [unrolled: 3-line block ×3, first 2 shown]
	ds_store_2addr_b64 v52, v[2:3], v[4:5] offset1:1
	ds_store_2addr_b64 v53, v[12:13], v[18:19] offset1:1
	;; [unrolled: 1-line block ×4, first 2 shown]
	global_wb scope:SCOPE_SE
	s_wait_dscnt 0x0
	s_barrier_signal -1
	s_barrier_wait -1
	global_inv scope:SCOPE_SE
	global_load_b64 v[8:9], v1, s[4:5]
	v_lshlrev_b32_e32 v7, 3, v45
	v_lshlrev_b32_e32 v10, 3, v20
	;; [unrolled: 1-line block ×5, first 2 shown]
	v_sub_nc_u32_e32 v11, v29, v7
	v_sub_nc_u32_e32 v18, v0, v10
	v_and_or_b32 v30, 0xfc, v1, v6
	v_and_or_b32 v31, 0x1fc, v2, v6
	;; [unrolled: 1-line block ×3, first 2 shown]
	v_add_nc_u32_e32 v0, 0x1000, v11
	v_sub_nc_u32_e32 v14, 0, v7
	v_lshlrev_b32_e32 v22, 3, v22
	v_lshlrev_b32_e32 v21, 3, v50
	v_cmp_gt_u32_e64 s0, 0x64, v45
	ds_load_2addr_b64 v[0:3], v0 offset0:38 offset1:148
	v_lshlrev_b32_e32 v4, 1, v20
	v_lshlrev_b32_e32 v20, 3, v23
	v_add_nc_u32_e32 v51, v29, v14
	v_add_nc_u32_e32 v7, 0x1800, v11
	v_sub_nc_u32_e32 v16, v53, v22
	v_sub_nc_u32_e32 v15, v52, v21
	;; [unrolled: 1-line block ×3, first 2 shown]
	v_and_or_b32 v33, 0x3fc, v4, v6
	v_lshl_add_u32 v30, v30, 3, 0
	v_lshl_add_u32 v31, v31, 3, 0
	;; [unrolled: 1-line block ×3, first 2 shown]
                                        ; implicit-def: $vgpr43
	s_delay_alu instid0(VALU_DEP_4) | instskip(SKIP_2) | instid1(VALU_DEP_1)
	v_lshl_add_u32 v33, v33, 3, 0
	s_wait_loadcnt_dscnt 0x0
	v_dual_mul_f32 v14, v9, v1 :: v_dual_lshlrev_b32 v5, 1, v23
	v_fmac_f32_e32 v14, v8, v0
	s_delay_alu instid0(VALU_DEP_2)
	v_and_or_b32 v34, 0x7fc, v5, v6
	ds_load_b64 v[12:13], v11
	ds_load_2addr_b64 v[4:7], v7 offset0:2 offset1:112
	ds_load_b64 v[16:17], v16
	ds_load_b64 v[23:24], v15
	ds_load_b64 v[10:11], v11 offset:7920
	ds_load_b64 v[25:26], v18
	ds_load_b64 v[27:28], v19
	v_mul_f32_e32 v15, v9, v0
	v_mul_f32_e32 v18, v9, v3
	;; [unrolled: 1-line block ×3, first 2 shown]
	v_lshl_add_u32 v34, v34, 3, 0
	global_wb scope:SCOPE_SE
	s_wait_dscnt 0x0
	v_fma_f32 v0, v8, v1, -v15
	v_fmac_f32_e32 v18, v8, v2
	v_fma_f32 v1, v8, v3, -v19
	s_barrier_signal -1
	s_barrier_wait -1
	global_inv scope:SCOPE_SE
	v_sub_f32_e32 v3, v13, v0
	v_mul_f32_e32 v29, v9, v5
	v_mul_f32_e32 v35, v9, v4
	;; [unrolled: 1-line block ×6, first 2 shown]
	v_fmac_f32_e32 v29, v8, v4
	v_fma_f32 v4, v8, v5, -v35
	v_fmac_f32_e32 v36, v8, v6
	v_fma_f32 v5, v8, v7, -v37
	;; [unrolled: 2-line block ×3, first 2 shown]
	v_dual_sub_f32 v7, v17, v4 :: v_dual_sub_f32 v2, v12, v14
	s_delay_alu instid0(VALU_DEP_4)
	v_dual_sub_f32 v11, v26, v5 :: v_dual_sub_f32 v14, v23, v18
	v_sub_f32_e32 v15, v24, v1
	v_sub_f32_e32 v6, v16, v29
	;; [unrolled: 1-line block ×3, first 2 shown]
	v_dual_sub_f32 v18, v27, v38 :: v_dual_sub_f32 v19, v28, v8
	v_fma_f32 v0, v12, 2.0, -v2
	v_fma_f32 v1, v13, 2.0, -v3
	;; [unrolled: 1-line block ×10, first 2 shown]
	ds_store_2addr_b64 v30, v[0:1], v[2:3] offset1:2
	ds_store_2addr_b64 v31, v[12:13], v[14:15] offset1:2
	;; [unrolled: 1-line block ×5, first 2 shown]
	global_wb scope:SCOPE_SE
	s_wait_dscnt 0x0
	s_barrier_signal -1
	s_barrier_wait -1
	global_inv scope:SCOPE_SE
	s_and_saveexec_b32 s1, s0
	s_cbranch_execz .LBB0_15
; %bb.14:
	v_add_nc_u32_e32 v4, 0x400, v51
	v_add_nc_u32_e32 v5, 0x800, v51
	;; [unrolled: 1-line block ×4, first 2 shown]
	ds_load_2addr_b64 v[0:3], v51 offset1:100
	ds_load_2addr_b64 v[12:15], v4 offset0:72 offset1:172
	ds_load_2addr_b64 v[4:7], v5 offset0:144 offset1:244
	;; [unrolled: 1-line block ×4, first 2 shown]
	ds_load_b64 v[42:43], v51 offset:8000
.LBB0_15:
	s_wait_alu 0xfffe
	s_or_b32 exec_lo, exec_lo, s1
	v_sub_nc_u32_e32 v55, 0, v21
	v_sub_nc_u32_e32 v56, 0, v22
	;; [unrolled: 1-line block ×3, first 2 shown]
	global_wb scope:SCOPE_SE
	s_wait_dscnt 0x0
	s_barrier_signal -1
	s_barrier_wait -1
	global_inv scope:SCOPE_SE
	s_and_saveexec_b32 s1, s0
	s_cbranch_execz .LBB0_17
; %bb.16:
	v_and_b32_e32 v58, 3, v45
	v_lshrrev_b32_e32 v59, 2, v45
	s_delay_alu instid0(VALU_DEP_2) | instskip(NEXT) | instid1(VALU_DEP_2)
	v_mul_u32_u24_e32 v20, 10, v58
	v_mul_u32_u24_e32 v59, 44, v59
	s_delay_alu instid0(VALU_DEP_2)
	v_lshlrev_b32_e32 v20, 3, v20
	s_clause 0x4
	global_load_b128 v[32:35], v20, s[4:5] offset:16
	global_load_b128 v[36:39], v20, s[4:5] offset:80
	;; [unrolled: 1-line block ×5, first 2 shown]
	s_wait_loadcnt 0x3
	v_dual_mul_f32 v61, v13, v35 :: v_dual_mul_f32 v62, v19, v37
	s_wait_loadcnt 0x1
	v_dual_mul_f32 v35, v12, v35 :: v_dual_mul_f32 v66, v11, v29
	;; [unrolled: 2-line block ×3, first 2 shown]
	v_dual_mul_f32 v65, v5, v27 :: v_dual_fmac_f32 v62, v18, v36
	v_mul_f32_e32 v29, v10, v29
	v_dual_mul_f32 v27, v4, v27 :: v_dual_fmac_f32 v66, v10, v28
	s_delay_alu instid0(VALU_DEP_3) | instskip(SKIP_1) | instid1(VALU_DEP_4)
	v_fmac_f32_e32 v65, v4, v26
	v_fmac_f32_e32 v68, v8, v22
	v_fma_f32 v4, v11, v28, -v29
	s_delay_alu instid0(VALU_DEP_4)
	v_fma_f32 v5, v5, v26, -v27
	v_mul_f32_e32 v60, v43, v39
	v_mul_f32_e32 v39, v42, v39
	v_or_b32_e32 v58, v59, v58
	v_mul_f32_e32 v59, v3, v33
	v_mul_f32_e32 v33, v2, v33
	v_dual_mul_f32 v37, v18, v37 :: v_dual_mul_f32 v64, v17, v31
	v_dual_fmac_f32 v61, v12, v34 :: v_dual_sub_f32 v28, v5, v4
	v_mul_f32_e32 v67, v7, v21
	v_mul_f32_e32 v21, v6, v21
	v_dual_mul_f32 v31, v16, v31 :: v_dual_fmac_f32 v60, v42, v38
	v_dual_mul_f32 v25, v14, v25 :: v_dual_fmac_f32 v64, v16, v30
	v_fma_f32 v18, v19, v36, -v37
	v_sub_f32_e32 v16, v65, v66
	v_fma_f32 v7, v7, v20, -v21
	v_fmac_f32_e32 v59, v2, v32
	v_fma_f32 v2, v3, v32, -v33
	v_fma_f32 v3, v13, v34, -v35
	v_fmac_f32_e32 v63, v14, v24
	s_delay_alu instid0(VALU_DEP_4)
	v_dual_mul_f32 v23, v8, v23 :: v_dual_sub_f32 v8, v59, v60
	v_fma_f32 v38, v43, v38, -v39
	v_fma_f32 v14, v17, v30, -v31
	;; [unrolled: 1-line block ×3, first 2 shown]
	v_dual_sub_f32 v10, v61, v62 :: v_dual_fmac_f32 v67, v6, v20
	v_sub_f32_e32 v24, v3, v18
	v_sub_f32_e32 v13, v63, v64
	v_fma_f32 v6, v9, v22, -v23
	v_sub_f32_e32 v22, v2, v38
	v_add_f32_e32 v9, v2, v38
	v_dual_add_f32 v15, v12, v14 :: v_dual_mul_f32 v42, 0xbe903f40, v8
	s_delay_alu instid0(VALU_DEP_4) | instskip(SKIP_4) | instid1(VALU_DEP_4)
	v_dual_add_f32 v17, v5, v4 :: v_dual_sub_f32 v30, v7, v6
	v_dual_sub_f32 v26, v12, v14 :: v_dual_sub_f32 v19, v67, v68
	v_add_f32_e32 v2, v1, v2
	v_dual_add_f32 v11, v3, v18 :: v_dual_mul_f32 v34, 0x3f68dda4, v13
	v_add_f32_e32 v20, v7, v6
	v_dual_mul_f32 v36, 0xbf4178ce, v19 :: v_dual_add_f32 v21, v59, v60
	v_mul_f32_e32 v70, 0xbf7d64f0, v19
	s_delay_alu instid0(VALU_DEP_3)
	v_dual_add_f32 v27, v0, v59 :: v_dual_mul_f32 v78, 0x3ed4b147, v20
	v_mul_f32_e32 v35, 0xbf0a6770, v16
	v_mul_f32_e32 v59, 0xbf4178ce, v13
	v_dual_mul_f32 v69, 0x3f68dda4, v16 :: v_dual_mul_f32 v100, 0x3f68dda4, v30
	v_dual_mul_f32 v75, 0xbe11bafb, v11 :: v_dual_mul_f32 v84, 0xbe11bafb, v17
	v_mul_f32_e32 v37, 0xbf7d64f0, v22
	v_dual_mul_f32 v81, 0x3ed4b147, v9 :: v_dual_fmamk_f32 v104, v15, 0x3ed4b147, v34
	v_mul_f32_e32 v86, 0xbf68dda4, v22
	v_dual_add_f32 v23, v61, v62 :: v_dual_mul_f32 v72, 0x3f0a6770, v24
	v_dual_add_f32 v25, v63, v64 :: v_dual_mul_f32 v74, 0xbf27a4f4, v9
	;; [unrolled: 1-line block ×3, first 2 shown]
	v_dual_mul_f32 v32, 0xbf7d64f0, v8 :: v_dual_add_f32 v29, v65, v66
	v_mul_f32_e32 v76, 0x3f575c64, v15
	v_dual_mul_f32 v33, 0x3e903f40, v10 :: v_dual_add_f32 v2, v2, v3
	v_mul_f32_e32 v43, 0x3f0a6770, v10
	v_dual_mul_f32 v71, 0xbe903f40, v22 :: v_dual_mul_f32 v96, 0xbe903f40, v28
	v_dual_mul_f32 v77, 0xbf75a155, v17 :: v_dual_mul_f32 v92, 0xbf75a155, v20
	s_delay_alu instid0(VALU_DEP_4)
	v_dual_mul_f32 v79, 0xbf4178ce, v22 :: v_dual_add_f32 v2, v2, v12
	v_dual_mul_f32 v80, 0x3f7d64f0, v24 :: v_dual_add_f32 v3, v27, v61
	v_dual_mul_f32 v85, 0x3f575c64, v20 :: v_dual_mul_f32 v88, 0x3f575c64, v9
	v_dual_mul_f32 v87, 0xbf4178ce, v24 :: v_dual_mul_f32 v98, 0xbf4178ce, v30
	v_dual_mul_f32 v89, 0x3ed4b147, v11 :: v_dual_fmamk_f32 v112, v17, 0x3ed4b147, v69
	v_dual_mul_f32 v90, 0xbe11bafb, v15 :: v_dual_fmamk_f32 v113, v20, 0xbe11bafb, v70
	;; [unrolled: 1-line block ×3, first 2 shown]
	v_mul_f32_e32 v22, 0xbf0a6770, v22
	v_mul_f32_e32 v27, 0x3f68dda4, v26
	v_dual_mul_f32 v61, 0xbf0a6770, v26 :: v_dual_mul_f32 v94, 0xbf0a6770, v28
	v_mul_f32_e32 v95, 0x3f68dda4, v28
	v_mul_f32_e32 v97, 0x3f7d64f0, v28
	;; [unrolled: 1-line block ×3, first 2 shown]
	v_fmamk_f32 v105, v17, 0x3f575c64, v35
	v_fmamk_f32 v111, v15, 0xbf27a4f4, v59
	v_fma_f32 v59, 0xbf27a4f4, v15, -v59
	v_fma_f32 v69, 0x3ed4b147, v17, -v69
	;; [unrolled: 1-line block ×3, first 2 shown]
	v_fmamk_f32 v122, v16, 0xbf7d64f0, v84
	v_fma_f32 v107, 0xbe11bafb, v21, -v37
	v_mul_f32_e32 v93, 0x3e903f40, v26
	v_mul_f32_e32 v83, 0xbf75a155, v15
	v_fma_f32 v15, 0x3ed4b147, v15, -v34
	v_fmamk_f32 v34, v8, 0x3f68dda4, v81
	v_fmac_f32_e32 v81, 0xbf68dda4, v8
	v_fmamk_f32 v126, v25, 0xbf75a155, v93
	v_fmamk_f32 v35, v21, 0x3ed4b147, v86
	v_mul_f32_e32 v39, 0x3e903f40, v24
	v_mul_f32_e32 v73, 0xbf4178ce, v26
	v_dual_mul_f32 v24, 0xbf68dda4, v24 :: v_dual_add_f32 v3, v3, v63
	v_mul_f32_e32 v101, 0x3f0a6770, v30
	v_dual_fmamk_f32 v102, v9, 0xbe11bafb, v32 :: v_dual_fmac_f32 v37, 0xbe11bafb, v21
	v_fma_f32 v114, 0xbf75a155, v21, -v71
	v_fma_f32 v70, 0xbe11bafb, v20, -v70
	v_fmamk_f32 v116, v8, 0x3f4178ce, v74
	v_fmamk_f32 v118, v13, 0x3f0a6770, v76
	v_fmamk_f32 v110, v11, 0x3f575c64, v43
	v_fma_f32 v43, 0x3f575c64, v11, -v43
	v_fma_f32 v20, 0xbf27a4f4, v20, -v36
	v_fmamk_f32 v36, v8, 0x3f0a6770, v88
	v_fmac_f32_e32 v74, 0xbf4178ce, v8
	v_dual_fmac_f32 v88, 0xbf0a6770, v8 :: v_dual_fmamk_f32 v123, v19, 0xbf0a6770, v85
	v_fmamk_f32 v8, v21, 0x3f575c64, v22
	v_fmamk_f32 v109, v9, 0xbf75a155, v42
	v_fma_f32 v42, 0xbf75a155, v9, -v42
	v_fmamk_f32 v103, v11, 0xbf75a155, v33
	v_fma_f32 v11, 0xbf75a155, v11, -v33
	v_fma_f32 v86, 0x3ed4b147, v21, -v86
	v_fmamk_f32 v33, v21, 0xbf27a4f4, v79
	v_dual_fmamk_f32 v12, v23, 0xbf27a4f4, v87 :: v_dual_fmamk_f32 v131, v29, 0xbf27a4f4, v28
	v_dual_add_f32 v35, v0, v35 :: v_dual_mul_f32 v26, 0xbf7d64f0, v26
	v_fmamk_f32 v117, v10, 0xbf7d64f0, v75
	v_mul_f32_e32 v99, 0xbf7d64f0, v30
	v_dual_mul_f32 v30, 0xbe903f40, v30 :: v_dual_fmamk_f32 v121, v13, 0xbe903f40, v83
	v_fma_f32 v115, 0x3f575c64, v23, -v72
	v_fmac_f32_e32 v71, 0xbf75a155, v21
	v_fmac_f32_e32 v72, 0x3f575c64, v23
	v_dual_fmamk_f32 v119, v16, 0x3e903f40, v77 :: v_dual_add_f32 v34, v1, v34
	v_fma_f32 v9, 0xbe11bafb, v9, -v32
	v_fmamk_f32 v32, v19, 0xbf68dda4, v78
	v_fma_f32 v79, 0xbf27a4f4, v21, -v79
	v_fma_f32 v21, 0x3f575c64, v21, -v22
	v_fmamk_f32 v120, v10, 0x3f4178ce, v82
	v_dual_fmamk_f32 v63, v10, 0x3f68dda4, v89 :: v_dual_add_f32 v74, v1, v74
	v_dual_fmac_f32 v75, 0x3f7d64f0, v10 :: v_dual_fmac_f32 v84, 0x3f7d64f0, v16
	v_fmac_f32_e32 v82, 0xbf4178ce, v10
	v_fmac_f32_e32 v89, 0xbf68dda4, v10
	v_fmamk_f32 v10, v13, 0x3f7d64f0, v90
	v_fmac_f32_e32 v76, 0xbf0a6770, v13
	v_fmac_f32_e32 v90, 0xbf7d64f0, v13
	v_fmamk_f32 v22, v23, 0xbe11bafb, v80
	v_fmac_f32_e32 v77, 0xbe903f40, v16
	v_fmac_f32_e32 v78, 0x3f68dda4, v19
	v_dual_fmac_f32 v85, 0x3f0a6770, v19 :: v_dual_add_f32 v2, v2, v5
	v_fma_f32 v80, 0xbe11bafb, v23, -v80
	v_fma_f32 v87, 0xbf27a4f4, v23, -v87
	v_dual_add_f32 v42, v1, v42 :: v_dual_fmac_f32 v83, 0x3e903f40, v13
	v_fmamk_f32 v13, v16, 0x3f4178ce, v91
	v_fmac_f32_e32 v91, 0xbf4178ce, v16
	v_fmamk_f32 v16, v19, 0x3e903f40, v92
	s_delay_alu instid0(VALU_DEP_4)
	v_add_f32_e32 v42, v43, v42
	v_fma_f32 v108, 0xbf75a155, v23, -v39
	v_dual_fmac_f32 v39, 0xbf75a155, v23 :: v_dual_add_f32 v36, v1, v36
	v_fmac_f32_e32 v92, 0xbe903f40, v19
	v_add_f32_e32 v86, v0, v86
	v_dual_fmamk_f32 v130, v29, 0xbe11bafb, v97 :: v_dual_add_f32 v33, v0, v33
	v_fmamk_f32 v19, v23, 0x3ed4b147, v24
	v_fma_f32 v23, 0x3ed4b147, v23, -v24
	v_fma_f32 v24, 0xbf27a4f4, v25, -v73
	v_dual_fmac_f32 v73, 0xbf27a4f4, v25 :: v_dual_add_f32 v12, v12, v35
	v_fma_f32 v124, 0x3ed4b147, v25, -v27
	v_fmac_f32_e32 v27, 0x3ed4b147, v25
	v_fmamk_f32 v125, v25, 0x3f575c64, v61
	v_fma_f32 v61, 0x3f575c64, v25, -v61
	v_fma_f32 v93, 0xbf75a155, v25, -v93
	;; [unrolled: 1-line block ×3, first 2 shown]
	v_fmac_f32_e32 v94, 0x3f575c64, v29
	v_fmamk_f32 v129, v29, 0xbf75a155, v96
	v_fma_f32 v96, 0xbf75a155, v29, -v96
	v_fma_f32 v97, 0xbe11bafb, v29, -v97
	;; [unrolled: 1-line block ×4, first 2 shown]
	v_fmac_f32_e32 v98, 0xbf27a4f4, v31
	v_fmamk_f32 v133, v31, 0x3ed4b147, v100
	v_fma_f32 v100, 0x3ed4b147, v31, -v100
	v_dual_fmamk_f32 v134, v31, 0x3f575c64, v101 :: v_dual_add_f32 v9, v1, v9
	v_fma_f32 v101, 0x3f575c64, v31, -v101
	v_dual_add_f32 v8, v0, v8 :: v_dual_fmamk_f32 v127, v25, 0xbe11bafb, v26
	v_fma_f32 v25, 0xbe11bafb, v25, -v26
	v_fma_f32 v26, 0x3ed4b147, v29, -v95
	v_dual_fmac_f32 v95, 0x3ed4b147, v29 :: v_dual_add_f32 v2, v2, v7
	v_fma_f32 v29, 0xbe11bafb, v31, -v99
	v_dual_fmac_f32 v99, 0xbe11bafb, v31 :: v_dual_add_f32 v22, v22, v33
	v_fmamk_f32 v135, v31, 0xbf75a155, v30
	v_fma_f32 v30, 0xbf75a155, v31, -v30
	v_dual_add_f32 v31, v1, v102 :: v_dual_add_f32 v102, v0, v107
	s_delay_alu instid0(VALU_DEP_4)
	v_add_f32_e32 v22, v125, v22
	v_add_f32_e32 v107, v1, v109
	v_dual_add_f32 v109, v0, v114 :: v_dual_add_f32 v114, v1, v116
	v_add_f32_e32 v71, v0, v71
	v_dual_add_f32 v33, v120, v34 :: v_dual_add_f32 v34, v63, v36
	v_dual_add_f32 v12, v126, v12 :: v_dual_add_f32 v37, v0, v37
	v_add_f32_e32 v79, v0, v79
	v_add_f32_e32 v0, v0, v21
	s_delay_alu instid0(VALU_DEP_4) | instskip(NEXT) | instid1(VALU_DEP_4)
	v_dual_add_f32 v10, v10, v34 :: v_dual_add_f32 v43, v72, v71
	v_dual_add_f32 v12, v130, v12 :: v_dual_add_f32 v7, v75, v74
	v_add_f32_e32 v36, v87, v86
	s_delay_alu instid0(VALU_DEP_3) | instskip(NEXT) | instid1(VALU_DEP_3)
	v_dual_add_f32 v0, v23, v0 :: v_dual_add_f32 v13, v13, v10
	v_dual_add_f32 v10, v134, v12 :: v_dual_add_f32 v3, v3, v65
	;; [unrolled: 1-line block ×3, first 2 shown]
	s_delay_alu instid0(VALU_DEP_3)
	v_dual_add_f32 v5, v103, v31 :: v_dual_add_f32 v0, v25, v0
	v_add_f32_e32 v9, v11, v9
	v_dual_add_f32 v8, v19, v8 :: v_dual_add_f32 v81, v1, v81
	v_dual_add_f32 v1, v1, v88 :: v_dual_add_f32 v2, v2, v6
	v_add_f32_e32 v24, v24, v65
	v_add_f32_e32 v21, v108, v102
	v_dual_add_f32 v28, v28, v0 :: v_dual_add_f32 v9, v15, v9
	s_delay_alu instid0(VALU_DEP_3) | instskip(SKIP_1) | instid1(VALU_DEP_4)
	v_dual_add_f32 v15, v121, v33 :: v_dual_add_f32 v24, v26, v24
	v_add_f32_e32 v33, v2, v4
	v_add_f32_e32 v21, v124, v21
	;; [unrolled: 1-line block ×3, first 2 shown]
	v_dual_add_f32 v13, v16, v13 :: v_dual_add_f32 v8, v127, v8
	s_delay_alu instid0(VALU_DEP_3) | instskip(SKIP_3) | instid1(VALU_DEP_3)
	v_dual_add_f32 v16, v33, v14 :: v_dual_add_f32 v21, v128, v21
	v_add_f32_e32 v3, v3, v67
	v_dual_add_f32 v11, v39, v37 :: v_dual_add_f32 v2, v29, v24
	v_add_f32_e32 v5, v104, v5
	;; [unrolled: 2-line block ×3, first 2 shown]
	v_dual_add_f32 v21, v16, v18 :: v_dual_add_f32 v18, v30, v28
	s_delay_alu instid0(VALU_DEP_3)
	v_dual_add_f32 v9, v17, v9 :: v_dual_add_f32 v34, v3, v66
	v_add_f32_e32 v17, v131, v8
	v_add_f32_e32 v37, v73, v43
	;; [unrolled: 1-line block ×5, first 2 shown]
	v_dual_add_f32 v9, v20, v9 :: v_dual_add_f32 v20, v34, v64
	v_add_f32_e32 v11, v27, v11
	v_dual_add_f32 v27, v93, v36 :: v_dual_add_f32 v12, v135, v17
	v_dual_add_f32 v31, v110, v107 :: v_dual_add_f32 v26, v95, v37
	v_dual_add_f32 v35, v82, v81 :: v_dual_add_f32 v36, v96, v7
	v_dual_add_f32 v39, v118, v71 :: v_dual_add_f32 v20, v20, v62
	s_delay_alu instid0(VALU_DEP_3) | instskip(NEXT) | instid1(VALU_DEP_3)
	v_add_f32_e32 v23, v111, v31
	v_dual_add_f32 v27, v97, v27 :: v_dual_add_f32 v14, v100, v36
	v_add_f32_e32 v31, v59, v42
	v_add_f32_e32 v4, v99, v26
	;; [unrolled: 1-line block ×3, first 2 shown]
	s_delay_alu instid0(VALU_DEP_4)
	v_dual_add_f32 v16, v101, v27 :: v_dual_add_f32 v1, v90, v1
	v_dual_add_f32 v15, v122, v15 :: v_dual_add_f32 v20, v20, v60
	v_add_f32_e32 v11, v94, v11
	v_add_f32_e32 v25, v69, v31
	;; [unrolled: 1-line block ×8, first 2 shown]
	v_lshl_add_u32 v58, v58, 3, 0
	v_dual_add_f32 v37, v91, v1 :: v_dual_add_f32 v8, v98, v11
	v_add_f32_e32 v11, v123, v15
	v_add_f32_e32 v1, v106, v5
	;; [unrolled: 1-line block ×9, first 2 shown]
	ds_store_2addr_b64 v58, v[10:11], v[8:9] offset0:8 offset1:12
	ds_store_2addr_b64 v58, v[6:7], v[4:5] offset0:16 offset1:20
	;; [unrolled: 1-line block ×4, first 2 shown]
	ds_store_2addr_b64 v58, v[20:21], v[12:13] offset1:4
	ds_store_b64 v58, v[18:19] offset:320
.LBB0_17:
	s_wait_alu 0xfffe
	s_or_b32 exec_lo, exec_lo, s1
	v_and_b32_e32 v0, 0xff, v45
	v_and_b32_e32 v1, 0xff, v50
	global_wb scope:SCOPE_SE
	s_wait_dscnt 0x0
	s_barrier_signal -1
	s_barrier_wait -1
	v_mul_lo_u16 v0, 0xbb, v0
	global_inv scope:SCOPE_SE
	v_lshrrev_b16 v30, 13, v0
	v_mul_lo_u16 v0, 0xbb, v1
	s_delay_alu instid0(VALU_DEP_2) | instskip(NEXT) | instid1(VALU_DEP_2)
	v_mul_lo_u16 v1, v30, 44
	v_lshrrev_b16 v31, 13, v0
	s_delay_alu instid0(VALU_DEP_2) | instskip(NEXT) | instid1(VALU_DEP_2)
	v_sub_nc_u16 v0, v45, v1
	v_mul_lo_u16 v1, v31, 44
	s_delay_alu instid0(VALU_DEP_2) | instskip(NEXT) | instid1(VALU_DEP_2)
	v_and_b32_e32 v58, 0xff, v0
	v_sub_nc_u16 v0, v50, v1
	s_delay_alu instid0(VALU_DEP_2) | instskip(NEXT) | instid1(VALU_DEP_2)
	v_lshlrev_b32_e32 v1, 5, v58
	v_and_b32_e32 v59, 0xff, v0
	global_load_b128 v[6:9], v1, s[4:5] offset:336
	v_lshlrev_b32_e32 v0, 5, v59
	s_clause 0x2
	global_load_b128 v[10:13], v1, s[4:5] offset:352
	global_load_b128 v[14:17], v0, s[4:5] offset:336
	;; [unrolled: 1-line block ×3, first 2 shown]
	v_add_nc_u32_e32 v2, v53, v56
	v_add_nc_u32_e32 v0, v54, v57
	;; [unrolled: 1-line block ×4, first 2 shown]
	ds_load_b64 v[34:35], v2
	v_add_nc_u32_e32 v3, 0x1400, v51
	ds_load_b64 v[36:37], v0
	ds_load_2addr_b64 v[22:25], v3 offset0:20 offset1:130
	ds_load_2addr_b64 v[26:29], v4 offset0:112 offset1:222
	s_wait_loadcnt_dscnt 0x201
	v_mul_f32_e32 v56, v11, v23
	v_mul_f32_e32 v11, v11, v22
	v_add_nc_u32_e32 v1, v52, v55
	v_and_b32_e32 v52, 0xffff, v30
	s_wait_loadcnt 0x0
	v_mul_f32_e32 v60, v25, v19
	v_fmac_f32_e32 v56, v10, v22
	v_fma_f32 v11, v10, v23, -v11
	s_wait_dscnt 0x0
	v_mul_f32_e32 v61, v29, v21
	v_mul_f32_e32 v21, v28, v21
	v_dual_fmac_f32 v60, v24, v18 :: v_dual_and_b32 v53, 0xffff, v31
	ds_load_b64 v[38:39], v51
	ds_load_2addr_b64 v[30:33], v5 offset0:10 offset1:230
	ds_load_b64 v[42:43], v1
	v_lshlrev_b32_e32 v55, 3, v59
	v_mul_f32_e32 v57, v13, v27
	v_mul_u32_u24_e32 v53, 0x6e0, v53
	v_mul_f32_e32 v13, v13, v26
	v_fma_f32 v21, v29, v20, -v21
	global_wb scope:SCOPE_SE
	s_wait_dscnt 0x0
	s_barrier_signal -1
	v_add3_u32 v53, 0, v53, v55
	v_dual_mul_f32 v55, v9, v37 :: v_dual_lshlrev_b32 v54, 3, v58
	v_mul_f32_e32 v9, v9, v36
	v_fma_f32 v22, v12, v27, -v13
	s_barrier_wait -1
	global_inv scope:SCOPE_SE
	v_mul_f32_e32 v59, v33, v17
	v_mul_f32_e32 v17, v32, v17
	v_mul_u32_u24_e32 v52, 0x6e0, v52
	s_delay_alu instid0(VALU_DEP_3) | instskip(NEXT) | instid1(VALU_DEP_2)
	v_dual_mul_f32 v58, v15, v31 :: v_dual_fmac_f32 v59, v32, v16
	v_add3_u32 v52, 0, v52, v54
	v_mul_f32_e32 v54, v7, v35
	v_mul_f32_e32 v7, v7, v34
	s_delay_alu instid0(VALU_DEP_4) | instskip(NEXT) | instid1(VALU_DEP_3)
	v_fmac_f32_e32 v58, v14, v30
	v_fmac_f32_e32 v54, v6, v34
	s_delay_alu instid0(VALU_DEP_3)
	v_fma_f32 v6, v6, v35, -v7
	v_fma_f32 v7, v8, v37, -v9
	v_fmac_f32_e32 v57, v12, v26
	v_fmac_f32_e32 v55, v8, v36
	v_fma_f32 v9, v33, v16, -v17
	v_dual_fmac_f32 v61, v28, v20 :: v_dual_add_f32 v10, v38, v54
	s_delay_alu instid0(VALU_DEP_4) | instskip(NEXT) | instid1(VALU_DEP_4)
	v_dual_add_f32 v16, v54, v57 :: v_dual_mul_f32 v19, v24, v19
	v_add_f32_e32 v12, v55, v56
	v_add_f32_e32 v24, v7, v11
	v_mul_f32_e32 v15, v15, v30
	v_dual_sub_f32 v13, v54, v55 :: v_dual_sub_f32 v26, v55, v56
	v_dual_sub_f32 v28, v22, v11 :: v_dual_add_f32 v23, v39, v6
	v_sub_f32_e32 v36, v58, v59
	s_delay_alu instid0(VALU_DEP_4)
	v_fma_f32 v8, v14, v31, -v15
	v_fma_f32 v15, v25, v18, -v19
	v_dual_sub_f32 v14, v57, v56 :: v_dual_add_f32 v29, v6, v22
	v_sub_f32_e32 v66, v59, v60
	v_dual_add_f32 v32, v42, v58 :: v_dual_add_f32 v33, v59, v60
	v_dual_sub_f32 v19, v6, v22 :: v_dual_sub_f32 v18, v56, v57
	v_dual_sub_f32 v17, v55, v54 :: v_dual_sub_f32 v34, v8, v21
	v_dual_sub_f32 v27, v6, v7 :: v_dual_add_f32 v64, v43, v8
	v_dual_sub_f32 v30, v7, v6 :: v_dual_sub_f32 v37, v61, v60
	v_add_f32_e32 v10, v10, v55
	v_add_f32_e32 v65, v9, v15
	v_dual_sub_f32 v25, v54, v57 :: v_dual_sub_f32 v62, v59, v58
	v_dual_sub_f32 v31, v11, v22 :: v_dual_add_f32 v54, v58, v61
	v_dual_add_f32 v69, v8, v21 :: v_dual_add_f32 v72, v17, v18
	v_sub_f32_e32 v20, v7, v11
	v_fma_f32 v6, -0.5, v12, v38
	v_dual_add_f32 v55, v13, v14 :: v_dual_add_f32 v14, v32, v59
	v_fma_f32 v38, -0.5, v16, v38
	v_add_f32_e32 v13, v23, v7
	v_fma_f32 v7, -0.5, v24, v39
	v_dual_sub_f32 v67, v8, v9 :: v_dual_sub_f32 v70, v9, v8
	v_dual_sub_f32 v71, v15, v21 :: v_dual_add_f32 v24, v30, v31
	v_fmac_f32_e32 v39, -0.5, v29
	v_dual_sub_f32 v35, v9, v15 :: v_dual_sub_f32 v58, v58, v61
	v_dual_sub_f32 v63, v60, v61 :: v_dual_sub_f32 v68, v21, v15
	v_fma_f32 v8, -0.5, v33, v42
	v_dual_add_f32 v17, v64, v9 :: v_dual_add_f32 v18, v10, v56
	v_fma_f32 v9, -0.5, v65, v43
	v_fma_f32 v42, -0.5, v54, v42
	v_fmac_f32_e32 v43, -0.5, v69
	v_dual_add_f32 v23, v27, v28 :: v_dual_add_f32 v28, v62, v63
	v_dual_add_f32 v27, v36, v37 :: v_dual_fmamk_f32 v10, v19, 0xbf737871, v6
	v_fmac_f32_e32 v6, 0x3f737871, v19
	v_dual_fmamk_f32 v12, v20, 0x3f737871, v38 :: v_dual_add_f32 v31, v13, v11
	v_dual_add_f32 v32, v14, v60 :: v_dual_fmamk_f32 v11, v25, 0x3f737871, v7
	v_add_f32_e32 v30, v70, v71
	v_dual_fmac_f32 v38, 0xbf737871, v20 :: v_dual_fmamk_f32 v13, v26, 0xbf737871, v39
	v_dual_fmac_f32 v39, 0x3f737871, v26 :: v_dual_fmamk_f32 v16, v35, 0x3f737871, v42
	v_dual_fmac_f32 v7, 0xbf737871, v25 :: v_dual_fmac_f32 v42, 0xbf737871, v35
	v_dual_add_f32 v29, v67, v68 :: v_dual_fmamk_f32 v14, v34, 0xbf737871, v8
	v_dual_add_f32 v33, v17, v15 :: v_dual_add_f32 v18, v18, v57
	v_fmamk_f32 v15, v58, 0x3f737871, v9
	v_fmamk_f32 v17, v66, 0xbf737871, v43
	v_fmac_f32_e32 v43, 0x3f737871, v66
	v_fmac_f32_e32 v8, 0x3f737871, v34
	;; [unrolled: 1-line block ×4, first 2 shown]
	v_dual_fmac_f32 v6, 0x3f167918, v20 :: v_dual_fmac_f32 v11, 0x3f167918, v26
	v_dual_fmac_f32 v12, 0xbf167918, v19 :: v_dual_fmac_f32 v7, 0xbf167918, v26
	;; [unrolled: 1-line block ×3, first 2 shown]
	v_add_f32_e32 v20, v32, v61
	v_dual_fmac_f32 v38, 0x3f167918, v19 :: v_dual_fmac_f32 v13, 0x3f167918, v25
	v_fmac_f32_e32 v15, 0x3f167918, v66
	v_fmac_f32_e32 v16, 0xbf167918, v34
	v_fmac_f32_e32 v42, 0x3f167918, v34
	v_fmac_f32_e32 v17, 0x3f167918, v58
	v_fmac_f32_e32 v43, 0xbf167918, v58
	v_dual_add_f32 v19, v31, v22 :: v_dual_fmac_f32 v8, 0x3f167918, v35
	v_add_f32_e32 v21, v33, v21
	v_fmac_f32_e32 v9, 0xbf167918, v66
	v_dual_fmac_f32 v10, 0x3e9e377a, v55 :: v_dual_fmac_f32 v13, 0x3e9e377a, v24
	v_dual_fmac_f32 v12, 0x3e9e377a, v72 :: v_dual_fmac_f32 v11, 0x3e9e377a, v23
	;; [unrolled: 1-line block ×8, first 2 shown]
	ds_store_2addr_b64 v52, v[18:19], v[10:11] offset1:44
	ds_store_2addr_b64 v52, v[12:13], v[38:39] offset0:88 offset1:132
	ds_store_b64 v52, v[6:7] offset:1408
	ds_store_2addr_b64 v53, v[20:21], v[14:15] offset1:44
	ds_store_2addr_b64 v53, v[16:17], v[42:43] offset0:88 offset1:132
	ds_store_b64 v53, v[8:9] offset:1408
	global_wb scope:SCOPE_SE
	s_wait_dscnt 0x0
	s_barrier_signal -1
	s_barrier_wait -1
	global_inv scope:SCOPE_SE
	s_and_saveexec_b32 s0, vcc_lo
	s_cbranch_execz .LBB0_19
; %bb.18:
	v_dual_mov_b32 v15, 0 :: v_dual_lshlrev_b32 v14, 2, v50
	v_lshrrev_b32_e32 v54, 2, v44
	v_mad_co_u64_u32 v[34:35], null, s8, v46, 0
	v_mad_co_u64_u32 v[36:37], null, s8, v47, 0
	s_delay_alu instid0(VALU_DEP_4)
	v_lshlrev_b64_e32 v[6:7], 3, v[14:15]
	v_lshlrev_b32_e32 v14, 2, v45
	v_mad_co_u64_u32 v[38:39], null, s8, v48, 0
	v_mul_hi_u32 v56, 0x94f2095, v54
	v_mad_co_u64_u32 v[42:43], null, s8, v49, 0
	v_add_co_u32 v10, vcc_lo, s4, v6
	s_wait_alu 0xfffd
	v_add_co_ci_u32_e32 v11, vcc_lo, s5, v7, vcc_lo
	s_clause 0x1
	global_load_b128 v[6:9], v[10:11], off offset:1744
	global_load_b128 v[10:13], v[10:11], off offset:1760
	v_lshlrev_b64_e32 v[14:15], 3, v[14:15]
	s_delay_alu instid0(VALU_DEP_1) | instskip(SKIP_1) | instid1(VALU_DEP_2)
	v_add_co_u32 v18, vcc_lo, s4, v14
	s_wait_alu 0xfffd
	v_add_co_ci_u32_e32 v19, vcc_lo, s5, v15, vcc_lo
	s_clause 0x1
	global_load_b128 v[14:17], v[18:19], off offset:1744
	global_load_b128 v[18:21], v[18:19], off offset:1760
	ds_load_2addr_b64 v[22:25], v5 offset0:10 offset1:230
	ds_load_2addr_b64 v[26:29], v3 offset0:20 offset1:130
	;; [unrolled: 1-line block ×3, first 2 shown]
	ds_load_b64 v[2:3], v2
	v_mad_co_u64_u32 v[4:5], null, s8, v45, 0
	v_add_co_u32 v62, vcc_lo, s10, v40
	s_wait_alu 0xfffd
	v_add_co_ci_u32_e32 v63, vcc_lo, s11, v41, vcc_lo
	ds_load_b64 v[52:53], v1
	ds_load_b64 v[0:1], v0
	;; [unrolled: 1-line block ×3, first 2 shown]
	s_wait_loadcnt 0x3
	v_mad_co_u64_u32 v[54:55], null, s9, v45, v[5:6]
	v_mad_co_u64_u32 v[45:46], null, s9, v46, v[35:36]
	;; [unrolled: 1-line block ×4, first 2 shown]
	v_lshrrev_b32_e32 v5, 1, v56
	v_mad_co_u64_u32 v[48:49], null, s9, v49, v[43:44]
	s_delay_alu instid0(VALU_DEP_2) | instskip(SKIP_3) | instid1(VALU_DEP_4)
	v_mad_u32_u24 v56, 0x370, v5, v44
	v_mov_b32_e32 v5, v54
	v_mov_b32_e32 v35, v45
	;; [unrolled: 1-line block ×3, first 2 shown]
	v_dual_mov_b32 v43, v48 :: v_dual_add_nc_u32 v58, 0xdc, v56
	v_mad_co_u64_u32 v[40:41], null, s8, v56, 0
	v_add_nc_u32_e32 v59, 0x1b8, v56
	s_delay_alu instid0(VALU_DEP_3) | instskip(NEXT) | instid1(VALU_DEP_4)
	v_lshlrev_b64_e32 v[42:43], 3, v[42:43]
	v_mad_co_u64_u32 v[44:45], null, s8, v58, 0
	v_add_nc_u32_e32 v60, 0x294, v56
	v_add_nc_u32_e32 v61, 0x370, v56
	v_mov_b32_e32 v39, v47
	v_mad_co_u64_u32 v[56:57], null, s9, v56, v[41:42]
	s_delay_alu instid0(VALU_DEP_4) | instskip(SKIP_4) | instid1(VALU_DEP_4)
	v_mad_co_u64_u32 v[48:49], null, s8, v60, 0
	v_mov_b32_e32 v41, v45
	v_lshlrev_b64_e32 v[4:5], 3, v[4:5]
	v_lshlrev_b64_e32 v[34:35], 3, v[34:35]
	;; [unrolled: 1-line block ×3, first 2 shown]
	v_mad_co_u64_u32 v[57:58], null, s9, v58, v[41:42]
	s_wait_dscnt 0x6
	v_dual_mov_b32 v41, v56 :: v_dual_mul_f32 v56, v9, v24
	v_mul_f32_e32 v24, v8, v24
	v_add_co_u32 v4, vcc_lo, v62, v4
	s_wait_alu 0xfffd
	v_add_co_ci_u32_e32 v5, vcc_lo, v63, v5, vcc_lo
	s_delay_alu instid0(VALU_DEP_3)
	v_fmac_f32_e32 v24, v25, v9
	v_mad_co_u64_u32 v[46:47], null, s8, v59, 0
	v_fma_f32 v8, v8, v25, -v56
	v_lshlrev_b64_e32 v[38:39], 3, v[38:39]
	v_add_co_u32 v34, vcc_lo, v62, v34
	s_wait_alu 0xfffd
	v_add_co_ci_u32_e32 v35, vcc_lo, v63, v35, vcc_lo
	v_mov_b32_e32 v45, v47
	v_mov_b32_e32 v47, v49
	v_add_co_u32 v36, vcc_lo, v62, v36
	s_wait_alu 0xfffd
	v_add_co_ci_u32_e32 v37, vcc_lo, v63, v37, vcc_lo
	v_mad_co_u64_u32 v[58:59], null, s9, v59, v[45:46]
	v_mad_co_u64_u32 v[59:60], null, s9, v60, v[47:48]
	v_mov_b32_e32 v45, v57
	v_add_co_u32 v38, vcc_lo, v62, v38
	s_wait_alu 0xfffd
	v_add_co_ci_u32_e32 v39, vcc_lo, v63, v39, vcc_lo
	s_wait_loadcnt_dscnt 0x205
	v_dual_mov_b32 v47, v58 :: v_dual_mul_f32 v58, v11, v28
	v_mul_f32_e32 v28, v10, v28
	v_add_co_u32 v42, vcc_lo, v62, v42
	s_wait_alu 0xfffd
	v_add_co_ci_u32_e32 v43, vcc_lo, v63, v43, vcc_lo
	s_delay_alu instid0(VALU_DEP_3) | instskip(SKIP_2) | instid1(VALU_DEP_1)
	v_fmac_f32_e32 v28, v29, v11
	v_mad_co_u64_u32 v[54:55], null, s8, v61, 0
	v_fma_f32 v10, v10, v29, -v58
	v_dual_add_f32 v64, v8, v10 :: v_dual_mov_b32 v49, v55
	s_wait_dscnt 0x0
	s_delay_alu instid0(VALU_DEP_1) | instskip(SKIP_3) | instid1(VALU_DEP_2)
	v_mad_co_u64_u32 v[60:61], null, s9, v61, v[49:50]
	v_mov_b32_e32 v49, v59
	v_mul_f32_e32 v59, v13, v32
	v_mul_f32_e32 v32, v12, v32
	v_fma_f32 v56, v12, v33, -v59
	s_delay_alu instid0(VALU_DEP_2)
	v_dual_fmac_f32 v32, v33, v13 :: v_dual_mul_f32 v57, v7, v22
	v_mul_f32_e32 v7, v7, v23
	s_wait_loadcnt 0x0
	v_mul_f32_e32 v12, v19, v26
	v_lshlrev_b64_e32 v[44:45], 3, v[44:45]
	v_sub_f32_e32 v66, v32, v28
	v_fma_f32 v23, v6, v23, -v57
	v_fmac_f32_e32 v7, v6, v22
	v_mul_f32_e32 v6, v15, v2
	v_lshlrev_b64_e32 v[40:41], 3, v[40:41]
	v_mul_f32_e32 v22, v21, v31
	v_lshlrev_b64_e32 v[46:47], 3, v[46:47]
	v_dual_mov_b32 v55, v60 :: v_dual_add_f32 v60, v7, v32
	v_sub_f32_e32 v58, v28, v32
	v_add_co_u32 v40, vcc_lo, v62, v40
	s_wait_alu 0xfffd
	v_add_co_ci_u32_e32 v41, vcc_lo, v63, v41, vcc_lo
	v_lshlrev_b64_e32 v[48:49], 3, v[48:49]
	v_add_co_u32 v44, vcc_lo, v62, v44
	s_wait_alu 0xfffd
	v_add_co_ci_u32_e32 v45, vcc_lo, v63, v45, vcc_lo
	v_lshlrev_b64_e32 v[54:55], 3, v[54:55]
	v_add_co_u32 v46, vcc_lo, v62, v46
	s_wait_alu 0xfffd
	v_add_co_ci_u32_e32 v47, vcc_lo, v63, v47, vcc_lo
	v_add_co_u32 v48, vcc_lo, v62, v48
	s_wait_alu 0xfffd
	v_add_co_ci_u32_e32 v49, vcc_lo, v63, v49, vcc_lo
	v_add_co_u32 v54, vcc_lo, v62, v54
	v_sub_f32_e32 v62, v23, v8
	v_sub_f32_e32 v65, v7, v24
	v_fma_f32 v6, v14, v3, -v6
	v_mul_f32_e32 v11, v21, v30
	v_mul_f32_e32 v21, v19, v27
	v_dual_sub_f32 v33, v7, v32 :: v_dual_fmac_f32 v22, v20, v30
	v_add_f32_e32 v30, v65, v66
	v_fma_f32 v27, v18, v27, -v12
	s_delay_alu instid0(VALU_DEP_4) | instskip(SKIP_4) | instid1(VALU_DEP_4)
	v_fmac_f32_e32 v21, v18, v26
	v_sub_f32_e32 v57, v24, v7
	v_add_f32_e32 v7, v7, v52
	v_mul_f32_e32 v9, v17, v0
	v_mul_f32_e32 v13, v15, v3
	v_dual_sub_f32 v59, v23, v56 :: v_dual_add_f32 v26, v57, v58
	s_delay_alu instid0(VALU_DEP_4) | instskip(NEXT) | instid1(VALU_DEP_4)
	v_add_f32_e32 v12, v24, v7
	v_fma_f32 v68, v16, v1, -v9
	v_fma_f32 v3, -0.5, v64, v53
	v_sub_f32_e32 v64, v21, v22
	v_fmac_f32_e32 v13, v14, v2
	s_wait_alu 0xfffd
	v_add_co_ci_u32_e32 v55, vcc_lo, v63, v55, vcc_lo
	v_sub_f32_e32 v14, v6, v68
	v_fma_f32 v31, v20, v31, -v11
	v_mul_f32_e32 v15, v17, v1
	v_dual_add_f32 v29, v23, v56 :: v_dual_sub_f32 v58, v68, v6
	v_sub_f32_e32 v61, v8, v10
	v_dual_sub_f32 v63, v56, v10 :: v_dual_add_f32 v66, v6, v51
	v_add_f32_e32 v67, v24, v28
	v_fmac_f32_e32 v15, v16, v0
	v_fma_f32 v0, -0.5, v60, v52
	v_sub_f32_e32 v17, v8, v23
	v_add_f32_e32 v23, v23, v53
	v_fma_f32 v1, -0.5, v29, v53
	v_add_f32_e32 v29, v62, v63
	v_fma_f32 v2, -0.5, v67, v52
	v_sub_f32_e32 v60, v27, v31
	v_sub_f32_e32 v53, v6, v31
	v_add_f32_e32 v62, v6, v31
	v_fmamk_f32 v6, v61, 0xbf737871, v0
	v_sub_f32_e32 v16, v31, v27
	v_dual_fmac_f32 v0, 0x3f737871, v61 :: v_dual_fmamk_f32 v9, v33, 0x3f737871, v3
	v_fmac_f32_e32 v3, 0xbf737871, v33
	s_delay_alu instid0(VALU_DEP_4)
	v_dual_fmac_f32 v6, 0x3f167918, v59 :: v_dual_sub_f32 v19, v10, v56
	v_dual_sub_f32 v18, v13, v15 :: v_dual_sub_f32 v25, v24, v28
	v_add_f32_e32 v52, v15, v21
	v_add_f32_e32 v28, v28, v12
	v_dual_add_f32 v11, v8, v23 :: v_dual_add_f32 v70, v14, v16
	v_fmamk_f32 v8, v59, 0xbf737871, v2
	v_dual_fmac_f32 v2, 0x3f737871, v59 :: v_dual_sub_f32 v23, v13, v22
	s_delay_alu instid0(VALU_DEP_3) | instskip(SKIP_2) | instid1(VALU_DEP_4)
	v_add_f32_e32 v69, v10, v11
	v_fma_f32 v10, -0.5, v52, v50
	v_add_f32_e32 v52, v58, v60
	v_dual_fmac_f32 v2, 0x3f167918, v61 :: v_dual_add_f32 v67, v13, v50
	s_delay_alu instid0(VALU_DEP_3) | instskip(SKIP_1) | instid1(VALU_DEP_3)
	v_dual_sub_f32 v57, v68, v27 :: v_dual_fmamk_f32 v16, v53, 0x3f737871, v10
	v_dual_add_f32 v65, v13, v22 :: v_dual_fmac_f32 v10, 0xbf737871, v53
	v_add_f32_e32 v58, v15, v67
	v_sub_f32_e32 v24, v15, v21
	v_add_f32_e32 v20, v17, v19
	v_dual_add_f32 v17, v68, v27 :: v_dual_fmac_f32 v8, 0xbf167918, v61
	v_dual_sub_f32 v19, v22, v21 :: v_dual_add_f32 v14, v32, v28
	v_dual_sub_f32 v63, v15, v13 :: v_dual_fmac_f32 v0, 0xbf167918, v59
	v_fma_f32 v13, -0.5, v62, v51
	s_delay_alu instid0(VALU_DEP_4)
	v_fma_f32 v11, -0.5, v17, v51
	v_fma_f32 v12, -0.5, v65, v50
	v_fmamk_f32 v7, v25, 0x3f737871, v1
	v_fmac_f32_e32 v1, 0xbf737871, v25
	v_dual_add_f32 v71, v18, v19 :: v_dual_fmac_f32 v6, 0x3e9e377a, v26
	v_add_f32_e32 v50, v68, v66
	v_fmamk_f32 v19, v24, 0x3f737871, v13
	v_dual_fmamk_f32 v17, v23, 0xbf737871, v11 :: v_dual_fmamk_f32 v18, v57, 0xbf737871, v12
	v_fmac_f32_e32 v11, 0x3f737871, v23
	v_fmac_f32_e32 v13, 0xbf737871, v24
	;; [unrolled: 1-line block ×7, first 2 shown]
	v_dual_add_f32 v25, v50, v27 :: v_dual_fmac_f32 v2, 0x3e9e377a, v30
	v_dual_fmac_f32 v19, 0xbf167918, v23 :: v_dual_fmac_f32 v10, 0xbf167918, v57
	v_add_f32_e32 v27, v58, v21
	v_dual_fmac_f32 v18, 0x3f167918, v53 :: v_dual_fmac_f32 v11, 0x3f167918, v24
	v_dual_add_f32 v51, v63, v64 :: v_dual_fmac_f32 v8, 0x3e9e377a, v30
	v_dual_fmac_f32 v17, 0xbf167918, v24 :: v_dual_fmac_f32 v12, 0xbf167918, v53
	v_dual_fmac_f32 v16, 0x3f167918, v57 :: v_dual_fmac_f32 v13, 0x3f167918, v23
	v_fmac_f32_e32 v7, 0x3e9e377a, v20
	v_fmac_f32_e32 v1, 0x3e9e377a, v20
	s_delay_alu instid0(VALU_DEP_3)
	v_dual_add_f32 v21, v31, v25 :: v_dual_fmac_f32 v16, 0x3e9e377a, v71
	v_fmac_f32_e32 v10, 0x3e9e377a, v71
	v_dual_add_f32 v20, v22, v27 :: v_dual_fmac_f32 v11, 0x3e9e377a, v70
	v_dual_fmac_f32 v13, 0x3e9e377a, v52 :: v_dual_fmac_f32 v12, 0x3e9e377a, v51
	v_dual_fmac_f32 v9, 0x3e9e377a, v29 :: v_dual_fmac_f32 v18, 0x3e9e377a, v51
	v_fmac_f32_e32 v19, 0x3e9e377a, v52
	v_fmac_f32_e32 v17, 0x3e9e377a, v70
	v_dual_add_f32 v15, v56, v69 :: v_dual_fmac_f32 v0, 0x3e9e377a, v26
	v_fmac_f32_e32 v3, 0x3e9e377a, v29
	s_clause 0x9
	global_store_b64 v[4:5], v[20:21], off
	global_store_b64 v[34:35], v[10:11], off
	;; [unrolled: 1-line block ×10, first 2 shown]
.LBB0_19:
	s_nop 0
	s_sendmsg sendmsg(MSG_DEALLOC_VGPRS)
	s_endpgm
	.section	.rodata,"a",@progbits
	.p2align	6, 0x0
	.amdhsa_kernel fft_rtc_back_len1100_factors_2_2_11_5_5_wgs_110_tpt_110_sp_ip_CI_sbrr_dirReg
		.amdhsa_group_segment_fixed_size 0
		.amdhsa_private_segment_fixed_size 0
		.amdhsa_kernarg_size 88
		.amdhsa_user_sgpr_count 2
		.amdhsa_user_sgpr_dispatch_ptr 0
		.amdhsa_user_sgpr_queue_ptr 0
		.amdhsa_user_sgpr_kernarg_segment_ptr 1
		.amdhsa_user_sgpr_dispatch_id 0
		.amdhsa_user_sgpr_private_segment_size 0
		.amdhsa_wavefront_size32 1
		.amdhsa_uses_dynamic_stack 0
		.amdhsa_enable_private_segment 0
		.amdhsa_system_sgpr_workgroup_id_x 1
		.amdhsa_system_sgpr_workgroup_id_y 0
		.amdhsa_system_sgpr_workgroup_id_z 0
		.amdhsa_system_sgpr_workgroup_info 0
		.amdhsa_system_vgpr_workitem_id 0
		.amdhsa_next_free_vgpr 136
		.amdhsa_next_free_sgpr 35
		.amdhsa_reserve_vcc 1
		.amdhsa_float_round_mode_32 0
		.amdhsa_float_round_mode_16_64 0
		.amdhsa_float_denorm_mode_32 3
		.amdhsa_float_denorm_mode_16_64 3
		.amdhsa_fp16_overflow 0
		.amdhsa_workgroup_processor_mode 1
		.amdhsa_memory_ordered 1
		.amdhsa_forward_progress 0
		.amdhsa_round_robin_scheduling 0
		.amdhsa_exception_fp_ieee_invalid_op 0
		.amdhsa_exception_fp_denorm_src 0
		.amdhsa_exception_fp_ieee_div_zero 0
		.amdhsa_exception_fp_ieee_overflow 0
		.amdhsa_exception_fp_ieee_underflow 0
		.amdhsa_exception_fp_ieee_inexact 0
		.amdhsa_exception_int_div_zero 0
	.end_amdhsa_kernel
	.text
.Lfunc_end0:
	.size	fft_rtc_back_len1100_factors_2_2_11_5_5_wgs_110_tpt_110_sp_ip_CI_sbrr_dirReg, .Lfunc_end0-fft_rtc_back_len1100_factors_2_2_11_5_5_wgs_110_tpt_110_sp_ip_CI_sbrr_dirReg
                                        ; -- End function
	.section	.AMDGPU.csdata,"",@progbits
; Kernel info:
; codeLenInByte = 8400
; NumSgprs: 37
; NumVgprs: 136
; ScratchSize: 0
; MemoryBound: 0
; FloatMode: 240
; IeeeMode: 1
; LDSByteSize: 0 bytes/workgroup (compile time only)
; SGPRBlocks: 4
; VGPRBlocks: 16
; NumSGPRsForWavesPerEU: 37
; NumVGPRsForWavesPerEU: 136
; Occupancy: 10
; WaveLimiterHint : 1
; COMPUTE_PGM_RSRC2:SCRATCH_EN: 0
; COMPUTE_PGM_RSRC2:USER_SGPR: 2
; COMPUTE_PGM_RSRC2:TRAP_HANDLER: 0
; COMPUTE_PGM_RSRC2:TGID_X_EN: 1
; COMPUTE_PGM_RSRC2:TGID_Y_EN: 0
; COMPUTE_PGM_RSRC2:TGID_Z_EN: 0
; COMPUTE_PGM_RSRC2:TIDIG_COMP_CNT: 0
	.text
	.p2alignl 7, 3214868480
	.fill 96, 4, 3214868480
	.type	__hip_cuid_ac190900d0fde613,@object ; @__hip_cuid_ac190900d0fde613
	.section	.bss,"aw",@nobits
	.globl	__hip_cuid_ac190900d0fde613
__hip_cuid_ac190900d0fde613:
	.byte	0                               ; 0x0
	.size	__hip_cuid_ac190900d0fde613, 1

	.ident	"AMD clang version 19.0.0git (https://github.com/RadeonOpenCompute/llvm-project roc-6.4.0 25133 c7fe45cf4b819c5991fe208aaa96edf142730f1d)"
	.section	".note.GNU-stack","",@progbits
	.addrsig
	.addrsig_sym __hip_cuid_ac190900d0fde613
	.amdgpu_metadata
---
amdhsa.kernels:
  - .args:
      - .actual_access:  read_only
        .address_space:  global
        .offset:         0
        .size:           8
        .value_kind:     global_buffer
      - .offset:         8
        .size:           8
        .value_kind:     by_value
      - .actual_access:  read_only
        .address_space:  global
        .offset:         16
        .size:           8
        .value_kind:     global_buffer
      - .actual_access:  read_only
        .address_space:  global
        .offset:         24
        .size:           8
        .value_kind:     global_buffer
      - .offset:         32
        .size:           8
        .value_kind:     by_value
      - .actual_access:  read_only
        .address_space:  global
        .offset:         40
        .size:           8
        .value_kind:     global_buffer
      - .actual_access:  read_only
        .address_space:  global
        .offset:         48
        .size:           8
        .value_kind:     global_buffer
      - .offset:         56
        .size:           4
        .value_kind:     by_value
      - .actual_access:  read_only
        .address_space:  global
        .offset:         64
        .size:           8
        .value_kind:     global_buffer
      - .actual_access:  read_only
        .address_space:  global
        .offset:         72
        .size:           8
        .value_kind:     global_buffer
      - .address_space:  global
        .offset:         80
        .size:           8
        .value_kind:     global_buffer
    .group_segment_fixed_size: 0
    .kernarg_segment_align: 8
    .kernarg_segment_size: 88
    .language:       OpenCL C
    .language_version:
      - 2
      - 0
    .max_flat_workgroup_size: 110
    .name:           fft_rtc_back_len1100_factors_2_2_11_5_5_wgs_110_tpt_110_sp_ip_CI_sbrr_dirReg
    .private_segment_fixed_size: 0
    .sgpr_count:     37
    .sgpr_spill_count: 0
    .symbol:         fft_rtc_back_len1100_factors_2_2_11_5_5_wgs_110_tpt_110_sp_ip_CI_sbrr_dirReg.kd
    .uniform_work_group_size: 1
    .uses_dynamic_stack: false
    .vgpr_count:     136
    .vgpr_spill_count: 0
    .wavefront_size: 32
    .workgroup_processor_mode: 1
amdhsa.target:   amdgcn-amd-amdhsa--gfx1201
amdhsa.version:
  - 1
  - 2
...

	.end_amdgpu_metadata
